;; amdgpu-corpus repo=ROCm/rocFFT kind=compiled arch=gfx1030 opt=O3
	.text
	.amdgcn_target "amdgcn-amd-amdhsa--gfx1030"
	.amdhsa_code_object_version 6
	.protected	fft_rtc_back_len528_factors_4_4_3_11_wgs_48_tpt_48_halfLds_half_op_CI_CI_unitstride_sbrr_dirReg ; -- Begin function fft_rtc_back_len528_factors_4_4_3_11_wgs_48_tpt_48_halfLds_half_op_CI_CI_unitstride_sbrr_dirReg
	.globl	fft_rtc_back_len528_factors_4_4_3_11_wgs_48_tpt_48_halfLds_half_op_CI_CI_unitstride_sbrr_dirReg
	.p2align	8
	.type	fft_rtc_back_len528_factors_4_4_3_11_wgs_48_tpt_48_halfLds_half_op_CI_CI_unitstride_sbrr_dirReg,@function
fft_rtc_back_len528_factors_4_4_3_11_wgs_48_tpt_48_halfLds_half_op_CI_CI_unitstride_sbrr_dirReg: ; @fft_rtc_back_len528_factors_4_4_3_11_wgs_48_tpt_48_halfLds_half_op_CI_CI_unitstride_sbrr_dirReg
; %bb.0:
	s_clause 0x2
	s_load_dwordx4 s[12:15], s[4:5], 0x0
	s_load_dwordx4 s[8:11], s[4:5], 0x58
	;; [unrolled: 1-line block ×3, first 2 shown]
	v_mul_u32_u24_e32 v1, 0x556, v0
	v_mov_b32_e32 v5, 0
	v_add_nc_u32_sdwa v8, s6, v1 dst_sel:DWORD dst_unused:UNUSED_PAD src0_sel:DWORD src1_sel:WORD_1
	v_mov_b32_e32 v1, 0
	v_mov_b32_e32 v9, v5
	v_mov_b32_e32 v2, 0
	s_waitcnt lgkmcnt(0)
	v_cmp_lt_u64_e64 s0, s[14:15], 2
	s_and_b32 vcc_lo, exec_lo, s0
	s_cbranch_vccnz .LBB0_8
; %bb.1:
	s_load_dwordx2 s[0:1], s[4:5], 0x10
	v_mov_b32_e32 v1, 0
	v_mov_b32_e32 v2, 0
	s_add_u32 s2, s18, 8
	s_addc_u32 s3, s19, 0
	s_add_u32 s6, s16, 8
	s_addc_u32 s7, s17, 0
	v_mov_b32_e32 v4, v2
	v_mov_b32_e32 v3, v1
	s_mov_b64 s[22:23], 1
	s_waitcnt lgkmcnt(0)
	s_add_u32 s20, s0, 8
	s_addc_u32 s21, s1, 0
.LBB0_2:                                ; =>This Inner Loop Header: Depth=1
	s_load_dwordx2 s[24:25], s[20:21], 0x0
	s_waitcnt lgkmcnt(0)
	v_or_b32_e32 v6, s25, v9
	v_cmp_ne_u64_e32 vcc_lo, 0, v[5:6]
                                        ; implicit-def: $vgpr6_vgpr7
	s_and_saveexec_b32 s0, vcc_lo
	s_xor_b32 s1, exec_lo, s0
	s_cbranch_execz .LBB0_4
; %bb.3:                                ;   in Loop: Header=BB0_2 Depth=1
	v_cvt_f32_u32_e32 v6, s24
	v_cvt_f32_u32_e32 v7, s25
	s_sub_u32 s0, 0, s24
	s_subb_u32 s26, 0, s25
	v_fmac_f32_e32 v6, 0x4f800000, v7
	v_rcp_f32_e32 v6, v6
	v_mul_f32_e32 v6, 0x5f7ffffc, v6
	v_mul_f32_e32 v7, 0x2f800000, v6
	v_trunc_f32_e32 v7, v7
	v_fmac_f32_e32 v6, 0xcf800000, v7
	v_cvt_u32_f32_e32 v7, v7
	v_cvt_u32_f32_e32 v6, v6
	v_mul_lo_u32 v10, s0, v7
	v_mul_hi_u32 v11, s0, v6
	v_mul_lo_u32 v12, s26, v6
	v_add_nc_u32_e32 v10, v11, v10
	v_mul_lo_u32 v11, s0, v6
	v_add_nc_u32_e32 v10, v10, v12
	v_mul_hi_u32 v12, v6, v11
	v_mul_lo_u32 v13, v6, v10
	v_mul_hi_u32 v14, v6, v10
	v_mul_hi_u32 v15, v7, v11
	v_mul_lo_u32 v11, v7, v11
	v_mul_hi_u32 v16, v7, v10
	v_mul_lo_u32 v10, v7, v10
	v_add_co_u32 v12, vcc_lo, v12, v13
	v_add_co_ci_u32_e32 v13, vcc_lo, 0, v14, vcc_lo
	v_add_co_u32 v11, vcc_lo, v12, v11
	v_add_co_ci_u32_e32 v11, vcc_lo, v13, v15, vcc_lo
	v_add_co_ci_u32_e32 v12, vcc_lo, 0, v16, vcc_lo
	v_add_co_u32 v10, vcc_lo, v11, v10
	v_add_co_ci_u32_e32 v11, vcc_lo, 0, v12, vcc_lo
	v_add_co_u32 v6, vcc_lo, v6, v10
	v_add_co_ci_u32_e32 v7, vcc_lo, v7, v11, vcc_lo
	v_mul_hi_u32 v10, s0, v6
	v_mul_lo_u32 v12, s26, v6
	v_mul_lo_u32 v11, s0, v7
	v_add_nc_u32_e32 v10, v10, v11
	v_mul_lo_u32 v11, s0, v6
	v_add_nc_u32_e32 v10, v10, v12
	v_mul_hi_u32 v12, v6, v11
	v_mul_lo_u32 v13, v6, v10
	v_mul_hi_u32 v14, v6, v10
	v_mul_hi_u32 v15, v7, v11
	v_mul_lo_u32 v11, v7, v11
	v_mul_hi_u32 v16, v7, v10
	v_mul_lo_u32 v10, v7, v10
	v_add_co_u32 v12, vcc_lo, v12, v13
	v_add_co_ci_u32_e32 v13, vcc_lo, 0, v14, vcc_lo
	v_add_co_u32 v11, vcc_lo, v12, v11
	v_add_co_ci_u32_e32 v11, vcc_lo, v13, v15, vcc_lo
	v_add_co_ci_u32_e32 v12, vcc_lo, 0, v16, vcc_lo
	v_add_co_u32 v10, vcc_lo, v11, v10
	v_add_co_ci_u32_e32 v11, vcc_lo, 0, v12, vcc_lo
	v_add_co_u32 v10, vcc_lo, v6, v10
	v_add_co_ci_u32_e32 v12, vcc_lo, v7, v11, vcc_lo
	v_mul_hi_u32 v14, v8, v10
	v_mad_u64_u32 v[10:11], null, v9, v10, 0
	v_mad_u64_u32 v[6:7], null, v8, v12, 0
	;; [unrolled: 1-line block ×3, first 2 shown]
	v_add_co_u32 v6, vcc_lo, v14, v6
	v_add_co_ci_u32_e32 v7, vcc_lo, 0, v7, vcc_lo
	v_add_co_u32 v6, vcc_lo, v6, v10
	v_add_co_ci_u32_e32 v6, vcc_lo, v7, v11, vcc_lo
	v_add_co_ci_u32_e32 v7, vcc_lo, 0, v13, vcc_lo
	v_add_co_u32 v10, vcc_lo, v6, v12
	v_add_co_ci_u32_e32 v11, vcc_lo, 0, v7, vcc_lo
	v_mul_lo_u32 v12, s25, v10
	v_mad_u64_u32 v[6:7], null, s24, v10, 0
	v_mul_lo_u32 v13, s24, v11
	v_sub_co_u32 v6, vcc_lo, v8, v6
	v_add3_u32 v7, v7, v13, v12
	v_sub_nc_u32_e32 v12, v9, v7
	v_subrev_co_ci_u32_e64 v12, s0, s25, v12, vcc_lo
	v_add_co_u32 v13, s0, v10, 2
	v_add_co_ci_u32_e64 v14, s0, 0, v11, s0
	v_sub_co_u32 v15, s0, v6, s24
	v_sub_co_ci_u32_e32 v7, vcc_lo, v9, v7, vcc_lo
	v_subrev_co_ci_u32_e64 v12, s0, 0, v12, s0
	v_cmp_le_u32_e32 vcc_lo, s24, v15
	v_cmp_eq_u32_e64 s0, s25, v7
	v_cndmask_b32_e64 v15, 0, -1, vcc_lo
	v_cmp_le_u32_e32 vcc_lo, s25, v12
	v_cndmask_b32_e64 v16, 0, -1, vcc_lo
	v_cmp_le_u32_e32 vcc_lo, s24, v6
	;; [unrolled: 2-line block ×3, first 2 shown]
	v_cndmask_b32_e64 v17, 0, -1, vcc_lo
	v_cmp_eq_u32_e32 vcc_lo, s25, v12
	v_cndmask_b32_e64 v6, v17, v6, s0
	v_cndmask_b32_e32 v12, v16, v15, vcc_lo
	v_add_co_u32 v15, vcc_lo, v10, 1
	v_add_co_ci_u32_e32 v16, vcc_lo, 0, v11, vcc_lo
	v_cmp_ne_u32_e32 vcc_lo, 0, v12
	v_cndmask_b32_e32 v7, v16, v14, vcc_lo
	v_cndmask_b32_e32 v12, v15, v13, vcc_lo
	v_cmp_ne_u32_e32 vcc_lo, 0, v6
	v_cndmask_b32_e32 v7, v11, v7, vcc_lo
	v_cndmask_b32_e32 v6, v10, v12, vcc_lo
.LBB0_4:                                ;   in Loop: Header=BB0_2 Depth=1
	s_andn2_saveexec_b32 s0, s1
	s_cbranch_execz .LBB0_6
; %bb.5:                                ;   in Loop: Header=BB0_2 Depth=1
	v_cvt_f32_u32_e32 v6, s24
	s_sub_i32 s1, 0, s24
	v_rcp_iflag_f32_e32 v6, v6
	v_mul_f32_e32 v6, 0x4f7ffffe, v6
	v_cvt_u32_f32_e32 v6, v6
	v_mul_lo_u32 v7, s1, v6
	v_mul_hi_u32 v7, v6, v7
	v_add_nc_u32_e32 v6, v6, v7
	v_mul_hi_u32 v6, v8, v6
	v_mul_lo_u32 v7, v6, s24
	v_add_nc_u32_e32 v10, 1, v6
	v_sub_nc_u32_e32 v7, v8, v7
	v_subrev_nc_u32_e32 v11, s24, v7
	v_cmp_le_u32_e32 vcc_lo, s24, v7
	v_cndmask_b32_e32 v7, v7, v11, vcc_lo
	v_cndmask_b32_e32 v6, v6, v10, vcc_lo
	v_cmp_le_u32_e32 vcc_lo, s24, v7
	v_add_nc_u32_e32 v10, 1, v6
	v_mov_b32_e32 v7, v5
	v_cndmask_b32_e32 v6, v6, v10, vcc_lo
.LBB0_6:                                ;   in Loop: Header=BB0_2 Depth=1
	s_or_b32 exec_lo, exec_lo, s0
	v_mul_lo_u32 v12, v7, s24
	v_mul_lo_u32 v13, v6, s25
	s_load_dwordx2 s[0:1], s[6:7], 0x0
	v_mad_u64_u32 v[10:11], null, v6, s24, 0
	s_load_dwordx2 s[24:25], s[2:3], 0x0
	s_add_u32 s22, s22, 1
	s_addc_u32 s23, s23, 0
	s_add_u32 s2, s2, 8
	s_addc_u32 s3, s3, 0
	s_add_u32 s6, s6, 8
	v_add3_u32 v11, v11, v13, v12
	v_sub_co_u32 v8, vcc_lo, v8, v10
	s_addc_u32 s7, s7, 0
	s_add_u32 s20, s20, 8
	v_sub_co_ci_u32_e32 v9, vcc_lo, v9, v11, vcc_lo
	s_addc_u32 s21, s21, 0
	s_waitcnt lgkmcnt(0)
	v_mul_lo_u32 v10, s0, v9
	v_mul_lo_u32 v11, s1, v8
	v_mad_u64_u32 v[1:2], null, s0, v8, v[1:2]
	v_mul_lo_u32 v9, s24, v9
	v_mul_lo_u32 v12, s25, v8
	v_mad_u64_u32 v[3:4], null, s24, v8, v[3:4]
	v_cmp_ge_u64_e64 s0, s[22:23], s[14:15]
	v_add3_u32 v2, v11, v2, v10
	v_add3_u32 v4, v12, v4, v9
	s_and_b32 vcc_lo, exec_lo, s0
	s_cbranch_vccnz .LBB0_9
; %bb.7:                                ;   in Loop: Header=BB0_2 Depth=1
	v_mov_b32_e32 v9, v7
	v_mov_b32_e32 v8, v6
	s_branch .LBB0_2
.LBB0_8:
	v_mov_b32_e32 v4, v2
	v_mov_b32_e32 v6, v8
	;; [unrolled: 1-line block ×4, first 2 shown]
.LBB0_9:
	s_load_dwordx2 s[0:1], s[4:5], 0x28
	v_mul_hi_u32 v28, 0x5555556, v0
	s_lshl_b64 s[4:5], s[14:15], 3
                                        ; implicit-def: $sgpr6
                                        ; implicit-def: $sgpr7
                                        ; implicit-def: $vgpr9
	s_add_u32 s2, s18, s4
	s_addc_u32 s3, s19, s5
	s_waitcnt lgkmcnt(0)
	v_cmp_gt_u64_e32 vcc_lo, s[0:1], v[6:7]
	v_cmp_le_u64_e64 s0, s[0:1], v[6:7]
	s_and_saveexec_b32 s1, s0
	s_xor_b32 s0, exec_lo, s1
; %bb.10:
	v_mul_u32_u24_e32 v1, 48, v28
	s_mov_b32 s7, 0
	s_mov_b32 s6, 0
                                        ; implicit-def: $vgpr28
	v_sub_nc_u32_e32 v9, v0, v1
                                        ; implicit-def: $vgpr0
                                        ; implicit-def: $vgpr1_vgpr2
; %bb.11:
	s_or_saveexec_b32 s1, s0
	s_load_dwordx2 s[2:3], s[2:3], 0x0
	v_mov_b32_e32 v16, s7
	v_mov_b32_e32 v5, s6
	;; [unrolled: 1-line block ×5, first 2 shown]
                                        ; implicit-def: $vgpr23
                                        ; implicit-def: $vgpr11
                                        ; implicit-def: $vgpr25
                                        ; implicit-def: $vgpr14
                                        ; implicit-def: $vgpr30
                                        ; implicit-def: $vgpr20
                                        ; implicit-def: $vgpr29
                                        ; implicit-def: $vgpr17
                                        ; implicit-def: $vgpr24
                                        ; implicit-def: $vgpr13
                                        ; implicit-def: $vgpr31
                                        ; implicit-def: $vgpr12
                                        ; implicit-def: $vgpr32
                                        ; implicit-def: $vgpr19
                                        ; implicit-def: $vgpr34
                                        ; implicit-def: $vgpr15
                                        ; implicit-def: $vgpr22
                                        ; implicit-def: $vgpr26
                                        ; implicit-def: $vgpr21
                                        ; implicit-def: $vgpr27
	s_xor_b32 exec_lo, exec_lo, s1
	s_cbranch_execz .LBB0_15
; %bb.12:
	s_add_u32 s4, s16, s4
	s_addc_u32 s5, s17, s5
	v_lshlrev_b64 v[1:2], 2, v[1:2]
	s_load_dwordx2 s[4:5], s[4:5], 0x0
	v_mov_b32_e32 v18, 0
	v_mov_b32_e32 v16, 0
                                        ; implicit-def: $vgpr27
                                        ; implicit-def: $vgpr21
                                        ; implicit-def: $vgpr26
                                        ; implicit-def: $vgpr22
	s_waitcnt lgkmcnt(0)
	v_mul_lo_u32 v5, s5, v6
	v_mul_lo_u32 v10, s4, v7
	v_mad_u64_u32 v[8:9], null, s4, v6, 0
	s_mov_b32 s4, exec_lo
	v_add3_u32 v9, v9, v10, v5
	v_mul_u32_u24_e32 v5, 48, v28
	v_lshlrev_b64 v[10:11], 2, v[8:9]
	v_sub_nc_u32_e32 v9, v0, v5
	v_lshlrev_b32_e32 v8, 2, v9
	v_add_co_u32 v0, s0, s8, v10
	v_add_co_ci_u32_e64 v5, s0, s9, v11, s0
	v_mov_b32_e32 v10, 0
	v_add_co_u32 v0, s0, v0, v1
	v_add_co_ci_u32_e64 v1, s0, v5, v2, s0
	v_add_co_u32 v0, s0, v0, v8
	v_add_co_ci_u32_e64 v1, s0, 0, v1, s0
	s_clause 0x7
	global_load_dword v11, v[0:1], off
	global_load_dword v15, v[0:1], off offset:1776
	global_load_dword v17, v[0:1], off offset:1584
	;; [unrolled: 1-line block ×7, first 2 shown]
	v_mov_b32_e32 v8, 0
	v_cmpx_gt_u32_e32 36, v9
	s_cbranch_execz .LBB0_14
; %bb.13:
	s_clause 0x3
	global_load_dword v10, v[0:1], off offset:384
	global_load_dword v8, v[0:1], off offset:912
	;; [unrolled: 1-line block ×4, first 2 shown]
	s_waitcnt vmcnt(3)
	v_lshrrev_b32_e32 v16, 16, v10
	s_waitcnt vmcnt(2)
	v_lshrrev_b32_e32 v18, 16, v8
	;; [unrolled: 2-line block ×4, first 2 shown]
.LBB0_14:
	s_or_b32 exec_lo, exec_lo, s4
	s_waitcnt vmcnt(7)
	v_lshrrev_b32_e32 v23, 16, v11
	s_waitcnt vmcnt(1)
	v_lshrrev_b32_e32 v25, 16, v14
	v_lshrrev_b32_e32 v30, 16, v20
	v_lshrrev_b32_e32 v29, 16, v17
	s_waitcnt vmcnt(0)
	v_lshrrev_b32_e32 v24, 16, v13
	v_lshrrev_b32_e32 v31, 16, v12
	;; [unrolled: 1-line block ×4, first 2 shown]
	v_mov_b32_e32 v5, v9
.LBB0_15:
	s_or_b32 exec_lo, exec_lo, s1
	v_sub_f16_e32 v20, v11, v20
	v_sub_f16_e32 v0, v14, v17
	;; [unrolled: 1-line block ×5, first 2 shown]
	v_fma_f16 v11, v11, 2.0, -v20
	v_fma_f16 v14, v14, 2.0, -v0
	v_sub_f16_e32 v26, v10, v26
	v_sub_f16_e32 v2, v8, v27
	v_fma_f16 v13, v13, 2.0, -v19
	v_fma_f16 v12, v12, 2.0, -v1
	v_sub_f16_e32 v14, v11, v14
	v_fma_f16 v10, v10, 2.0, -v26
	v_fma_f16 v8, v8, 2.0, -v2
	v_sub_f16_e32 v38, v18, v21
	v_add_f16_e32 v21, v20, v33
	v_sub_f16_e32 v36, v31, v34
	v_fma_f16 v11, v11, 2.0, -v14
	v_sub_f16_e32 v27, v13, v12
	v_sub_f16_e32 v12, v10, v8
	v_fma_f16 v8, v20, 2.0, -v21
	v_add_f16_e32 v28, v19, v36
	v_add_f16_e32 v17, v26, v38
	v_fma_f16 v13, v13, 2.0, -v27
	v_fma_f16 v15, v10, 2.0, -v12
	v_add_nc_u32_e32 v10, 48, v9
	v_pack_b32_f16 v8, v11, v8
	v_add_nc_u32_e32 v11, 0x60, v9
	v_fma_f16 v20, v19, 2.0, -v28
	v_fma_f16 v19, v26, 2.0, -v17
	v_lshl_add_u32 v34, v9, 3, 0
	v_pack_b32_f16 v14, v14, v21
	v_lshl_add_u32 v37, v10, 3, 0
	v_cmp_gt_u32_e64 s0, 36, v9
	v_lshl_add_u32 v35, v11, 3, 0
	v_pack_b32_f16 v21, v27, v28
	v_pack_b32_f16 v13, v13, v20
	ds_write2_b32 v34, v8, v14 offset1:1
	ds_write2_b32 v37, v13, v21 offset1:1
	s_and_saveexec_b32 s1, s0
	s_cbranch_execz .LBB0_17
; %bb.16:
	v_perm_b32 v8, v17, v12, 0x5040100
	v_perm_b32 v13, v19, v15, 0x5040100
	ds_write2_b32 v35, v13, v8 offset1:1
.LBB0_17:
	s_or_b32 exec_lo, exec_lo, s1
	v_mad_i32_i24 v8, v9, -6, v34
	s_waitcnt lgkmcnt(0)
	s_barrier
	buffer_gl0_inv
	ds_read_u16 v20, v8
	ds_read_u16 v26, v8 offset:888
	ds_read_u16 v27, v8 offset:792
	;; [unrolled: 1-line block ×7, first 2 shown]
	v_mul_i32_i24_e32 v8, -6, v9
	v_add_nc_u32_e32 v8, v34, v8
	s_and_saveexec_b32 s1, s0
	s_cbranch_execz .LBB0_19
; %bb.18:
	ds_read_u16 v15, v8 offset:192
	ds_read_u16 v19, v8 offset:456
	;; [unrolled: 1-line block ×4, first 2 shown]
.LBB0_19:
	s_or_b32 exec_lo, exec_lo, s1
	v_sub_f16_e32 v39, v23, v30
	v_sub_f16_e32 v32, v24, v32
	v_fma_f16 v25, v25, 2.0, -v33
	v_sub_f16_e32 v22, v16, v22
	v_fma_f16 v30, v31, 2.0, -v36
	v_fma_f16 v23, v23, 2.0, -v39
	;; [unrolled: 1-line block ×4, first 2 shown]
	v_sub_f16_e32 v0, v39, v0
	v_fma_f16 v16, v16, 2.0, -v22
	v_sub_f16_e32 v25, v23, v25
	v_sub_f16_e32 v1, v32, v1
	;; [unrolled: 1-line block ×5, first 2 shown]
	v_fma_f16 v2, v23, 2.0, -v25
	v_fma_f16 v23, v39, 2.0, -v0
	;; [unrolled: 1-line block ×6, first 2 shown]
	v_pack_b32_f16 v2, v2, v23
	v_pack_b32_f16 v0, v25, v0
	;; [unrolled: 1-line block ×4, first 2 shown]
	s_waitcnt lgkmcnt(0)
	s_barrier
	buffer_gl0_inv
	ds_write2_b32 v34, v2, v0 offset1:1
	ds_write2_b32 v37, v22, v1 offset1:1
	s_and_saveexec_b32 s1, s0
	s_cbranch_execz .LBB0_21
; %bb.20:
	v_perm_b32 v0, v30, v18, 0x5040100
	v_perm_b32 v1, v31, v16, 0x5040100
	ds_write2_b32 v35, v1, v0 offset1:1
.LBB0_21:
	s_or_b32 exec_lo, exec_lo, s1
	s_waitcnt lgkmcnt(0)
	s_barrier
	buffer_gl0_inv
	ds_read_u16 v22, v8
	ds_read_u16 v36, v8 offset:888
	ds_read_u16 v37, v8 offset:792
	;; [unrolled: 1-line block ×7, first 2 shown]
	v_lshlrev_b32_e32 v34, 2, v9
	v_lshlrev_b32_e32 v33, 2, v10
	s_and_saveexec_b32 s1, s0
	s_cbranch_execz .LBB0_23
; %bb.22:
	ds_read_u16 v16, v8 offset:192
	ds_read_u16 v31, v8 offset:456
	;; [unrolled: 1-line block ×4, first 2 shown]
.LBB0_23:
	s_or_b32 exec_lo, exec_lo, s1
	v_and_b32_e32 v23, 3, v9
	v_mul_u32_u24_e32 v0, 3, v23
	v_and_or_b32 v34, 0xf0, v34, v23
	v_and_or_b32 v40, 0x1f0, v33, v23
	v_lshlrev_b32_e32 v33, 2, v11
	v_lshlrev_b32_e32 v0, 2, v0
	v_lshl_add_u32 v35, v34, 1, 0
	v_lshl_add_u32 v34, v40, 1, 0
	global_load_dwordx3 v[0:2], v0, s[12:13]
	s_waitcnt vmcnt(0) lgkmcnt(0)
	s_barrier
	buffer_gl0_inv
	v_mul_f16_sdwa v45, v39, v0 dst_sel:DWORD dst_unused:UNUSED_PAD src0_sel:DWORD src1_sel:WORD_1
	v_mul_f16_sdwa v42, v32, v1 dst_sel:DWORD dst_unused:UNUSED_PAD src0_sel:DWORD src1_sel:WORD_1
	;; [unrolled: 1-line block ×15, first 2 shown]
	v_fmac_f16_e32 v45, v29, v0
	v_fmac_f16_e32 v42, v14, v1
	;; [unrolled: 1-line block ×6, first 2 shown]
	v_fma_f16 v41, v39, v0, -v40
	v_fma_f16 v27, v37, v2, -v44
	v_fma_f16 v40, v38, v0, -v47
	v_fma_f16 v26, v36, v2, -v50
	v_fmac_f16_e32 v51, v19, v0
	v_fma_f16 v39, v31, v0, -v52
	v_fmac_f16_e32 v53, v12, v1
	v_fmac_f16_e32 v54, v17, v2
	v_fma_f16 v0, v30, v2, -v55
	v_sub_f16_e32 v2, v20, v42
	v_sub_f16_e32 v36, v45, v43
	;; [unrolled: 1-line block ×9, first 2 shown]
	v_fma_f16 v20, v20, 2.0, -v2
	v_fma_f16 v26, v45, 2.0, -v36
	;; [unrolled: 1-line block ×4, first 2 shown]
	v_add_f16_e32 v27, v2, v44
	v_add_f16_e32 v29, v17, v43
	v_fma_f16 v0, v15, 2.0, -v19
	v_fma_f16 v30, v51, 2.0, -v38
	v_add_f16_e32 v15, v19, v42
	v_sub_f16_e32 v26, v20, v26
	v_sub_f16_e32 v28, v21, v28
	v_fma_f16 v31, v2, 2.0, -v27
	v_fma_f16 v45, v17, 2.0, -v29
	v_sub_f16_e32 v17, v0, v30
	v_fma_f16 v2, v19, 2.0, -v15
	v_fma_f16 v19, v20, 2.0, -v26
	;; [unrolled: 1-line block ×3, first 2 shown]
	ds_write_b16 v35, v27 offset:24
	ds_write_b16 v35, v31 offset:8
	;; [unrolled: 1-line block ×3, first 2 shown]
	ds_write_b16 v35, v19
	ds_write_b16 v34, v20
	ds_write_b16 v34, v45 offset:8
	ds_write_b16 v34, v28 offset:16
	;; [unrolled: 1-line block ×3, first 2 shown]
	s_and_saveexec_b32 s1, s0
	s_cbranch_execz .LBB0_25
; %bb.24:
	v_and_or_b32 v19, 0x3f0, v33, v23
	v_fma_f16 v0, v0, 2.0, -v17
	v_lshl_add_u32 v19, v19, 1, 0
	ds_write_b16 v19, v0
	ds_write_b16 v19, v2 offset:8
	ds_write_b16 v19, v17 offset:16
	;; [unrolled: 1-line block ×3, first 2 shown]
.LBB0_25:
	s_or_b32 exec_lo, exec_lo, s1
	s_waitcnt lgkmcnt(0)
	s_barrier
	buffer_gl0_inv
	ds_read_u16 v27, v8 offset:448
	ds_read_u16 v26, v8 offset:800
	v_lshl_add_u32 v0, v9, 1, 0
	ds_read_u16 v30, v8 offset:704
	ds_read_u16 v28, v8 offset:544
	;; [unrolled: 1-line block ×4, first 2 shown]
	ds_read_u16 v21, v8
	ds_read_u16 v19, v0 offset:192
	ds_read_u16 v29, v8 offset:896
	v_cmp_gt_u32_e64 s1, 32, v9
	s_and_saveexec_b32 s4, s1
	s_cbranch_execz .LBB0_27
; %bb.26:
	ds_read_u16 v2, v0 offset:288
	ds_read_u16 v17, v0 offset:640
	;; [unrolled: 1-line block ×3, first 2 shown]
.LBB0_27:
	s_or_b32 exec_lo, exec_lo, s4
	v_mul_f16_sdwa v14, v14, v1 dst_sel:DWORD dst_unused:UNUSED_PAD src0_sel:DWORD src1_sel:WORD_1
	v_mul_f16_sdwa v13, v13, v1 dst_sel:DWORD dst_unused:UNUSED_PAD src0_sel:DWORD src1_sel:WORD_1
	;; [unrolled: 1-line block ×3, first 2 shown]
	v_fma_f16 v41, v41, 2.0, -v44
	v_fma_f16 v40, v40, 2.0, -v43
	v_fma_f16 v14, v32, v1, -v14
	v_fma_f16 v13, v25, v1, -v13
	;; [unrolled: 1-line block ×3, first 2 shown]
	v_fma_f16 v32, v39, 2.0, -v42
	s_waitcnt lgkmcnt(0)
	v_sub_f16_e32 v18, v22, v14
	v_sub_f16_e32 v13, v24, v13
	;; [unrolled: 1-line block ×3, first 2 shown]
	s_barrier
	buffer_gl0_inv
	v_fma_f16 v22, v22, 2.0, -v18
	v_fma_f16 v24, v24, 2.0, -v13
	v_sub_f16_e32 v25, v18, v36
	v_sub_f16_e32 v36, v13, v37
	v_fma_f16 v14, v16, 2.0, -v1
	v_sub_f16_e32 v12, v1, v38
	v_sub_f16_e32 v16, v22, v41
	;; [unrolled: 1-line block ×3, first 2 shown]
	v_fma_f16 v18, v18, 2.0, -v25
	v_fma_f16 v38, v13, 2.0, -v36
	v_sub_f16_e32 v13, v14, v32
	v_fma_f16 v1, v1, 2.0, -v12
	v_fma_f16 v22, v22, 2.0, -v16
	;; [unrolled: 1-line block ×3, first 2 shown]
	ds_write_b16 v35, v18 offset:8
	ds_write_b16 v35, v22
	ds_write_b16 v35, v16 offset:16
	ds_write_b16 v35, v25 offset:24
	ds_write_b16 v34, v24
	ds_write_b16 v34, v38 offset:8
	ds_write_b16 v34, v37 offset:16
	;; [unrolled: 1-line block ×3, first 2 shown]
	s_and_saveexec_b32 s4, s0
	s_cbranch_execz .LBB0_29
; %bb.28:
	v_and_or_b32 v16, 0x3f0, v33, v23
	v_fma_f16 v14, v14, 2.0, -v13
	v_lshl_add_u32 v16, v16, 1, 0
	ds_write_b16 v16, v14
	ds_write_b16 v16, v1 offset:8
	ds_write_b16 v16, v13 offset:16
	;; [unrolled: 1-line block ×3, first 2 shown]
.LBB0_29:
	s_or_b32 exec_lo, exec_lo, s4
	s_waitcnt lgkmcnt(0)
	s_barrier
	buffer_gl0_inv
	ds_read_u16 v16, v8 offset:448
	ds_read_u16 v14, v8 offset:800
	;; [unrolled: 1-line block ×6, first 2 shown]
	ds_read_u16 v25, v8
	ds_read_u16 v22, v0 offset:192
	ds_read_u16 v37, v8 offset:896
	s_and_saveexec_b32 s0, s1
	s_cbranch_execz .LBB0_31
; %bb.30:
	ds_read_u16 v1, v0 offset:288
	ds_read_u16 v13, v0 offset:640
	;; [unrolled: 1-line block ×3, first 2 shown]
.LBB0_31:
	s_or_b32 exec_lo, exec_lo, s0
	v_and_b32_e32 v24, 15, v9
	v_lshrrev_b32_e32 v10, 4, v10
	v_lshrrev_b32_e32 v11, 4, v11
	v_add_nc_u32_e32 v33, 0x90, v9
	v_lshlrev_b32_e32 v32, 3, v24
	v_mul_u32_u24_e32 v10, 48, v10
	v_mul_u32_u24_e32 v34, 48, v11
	v_lshrrev_b32_e32 v11, 4, v33
	global_load_dwordx2 v[45:46], v32, s[12:13] offset:48
	v_lshrrev_b32_e32 v32, 4, v9
	v_or_b32_e32 v10, v10, v24
	v_or_b32_e32 v33, v34, v24
	s_waitcnt vmcnt(0) lgkmcnt(0)
	s_barrier
	v_mul_u32_u24_e32 v32, 48, v32
	v_lshl_add_u32 v35, v10, 1, 0
	v_lshl_add_u32 v34, v33, 1, 0
	buffer_gl0_inv
	v_or_b32_e32 v32, v32, v24
	v_lshl_add_u32 v36, v32, 1, 0
	v_mul_f16_sdwa v43, v39, v45 dst_sel:DWORD dst_unused:UNUSED_PAD src0_sel:DWORD src1_sel:WORD_1
	v_mul_f16_sdwa v44, v38, v46 dst_sel:DWORD dst_unused:UNUSED_PAD src0_sel:DWORD src1_sel:WORD_1
	;; [unrolled: 1-line block ×9, first 2 shown]
	v_fmac_f16_e32 v43, v31, v45
	v_fmac_f16_e32 v44, v30, v46
	v_mul_f16_sdwa v49, v27, v45 dst_sel:DWORD dst_unused:UNUSED_PAD src0_sel:DWORD src1_sel:WORD_1
	v_mul_f16_sdwa v50, v26, v46 dst_sel:DWORD dst_unused:UNUSED_PAD src0_sel:DWORD src1_sel:WORD_1
	v_fmac_f16_e32 v10, v27, v45
	v_fmac_f16_e32 v42, v26, v46
	v_mul_f16_sdwa v51, v28, v45 dst_sel:DWORD dst_unused:UNUSED_PAD src0_sel:DWORD src1_sel:WORD_1
	v_mul_f16_sdwa v52, v29, v46 dst_sel:DWORD dst_unused:UNUSED_PAD src0_sel:DWORD src1_sel:WORD_1
	v_mul_f16_sdwa v32, v13, v45 dst_sel:DWORD dst_unused:UNUSED_PAD src0_sel:DWORD src1_sel:WORD_1
	v_mul_f16_sdwa v54, v15, v46 dst_sel:DWORD dst_unused:UNUSED_PAD src0_sel:DWORD src1_sel:WORD_1
	v_fmac_f16_e32 v40, v28, v45
	v_fmac_f16_e32 v41, v29, v46
	v_mul_f16_sdwa v33, v12, v46 dst_sel:DWORD dst_unused:UNUSED_PAD src0_sel:DWORD src1_sel:WORD_1
	v_fma_f16 v31, v39, v45, -v47
	v_fma_f16 v30, v38, v46, -v48
	;; [unrolled: 1-line block ×3, first 2 shown]
	v_add_f16_e32 v13, v43, v44
	v_fma_f16 v16, v16, v45, -v49
	v_fma_f16 v27, v14, v46, -v50
	v_add_f16_e32 v29, v10, v42
	v_fma_f16 v14, v18, v45, -v51
	v_fma_f16 v28, v37, v46, -v52
	v_fmac_f16_e32 v32, v17, v45
	v_fma_f16 v17, v12, v46, -v54
	v_add_f16_e32 v12, v21, v43
	v_add_f16_e32 v39, v40, v41
	v_fmac_f16_e32 v33, v15, v46
	v_sub_f16_e32 v15, v31, v30
	v_fmac_f16_e32 v21, -0.5, v13
	v_add_f16_e32 v18, v20, v10
	v_sub_f16_e32 v37, v16, v27
	v_fmac_f16_e32 v20, -0.5, v29
	v_add_f16_e32 v38, v19, v40
	v_sub_f16_e32 v45, v14, v28
	v_add_f16_e32 v12, v12, v44
	v_fmac_f16_e32 v19, -0.5, v39
	v_fmamk_f16 v29, v15, 0xbaee, v21
	v_fmac_f16_e32 v21, 0x3aee, v15
	v_add_f16_e32 v13, v18, v42
	v_fmamk_f16 v15, v37, 0xbaee, v20
	v_add_f16_e32 v18, v38, v41
	v_fmac_f16_e32 v20, 0x3aee, v37
	v_fmamk_f16 v37, v45, 0xbaee, v19
	v_fmac_f16_e32 v19, 0x3aee, v45
	ds_write_b16 v36, v12
	ds_write_b16 v36, v29 offset:32
	ds_write_b16 v36, v21 offset:64
	ds_write_b16 v35, v13
	ds_write_b16 v35, v15 offset:32
	ds_write_b16 v35, v20 offset:64
	ds_write_b16 v34, v18
	ds_write_b16 v34, v37 offset:32
	ds_write_b16 v34, v19 offset:64
	s_and_saveexec_b32 s0, s1
	s_cbranch_execz .LBB0_33
; %bb.32:
	v_mul_u32_u24_e32 v12, 48, v11
	v_add_f16_e32 v13, v32, v33
	v_add_f16_e32 v18, v2, v32
	v_sub_f16_e32 v15, v26, v17
	v_or_b32_e32 v12, v12, v24
	v_fma_f16 v2, -0.5, v13, v2
	v_add_f16_e32 v13, v18, v33
	v_lshl_add_u32 v12, v12, 1, 0
	v_fmamk_f16 v18, v15, 0x3aee, v2
	v_fmac_f16_e32 v2, 0xbaee, v15
	ds_write_b16 v12, v13
	ds_write_b16 v12, v2 offset:32
	ds_write_b16 v12, v18 offset:64
.LBB0_33:
	s_or_b32 exec_lo, exec_lo, s0
	v_add_f16_e32 v2, v31, v30
	v_add_f16_e32 v12, v25, v31
	v_sub_f16_e32 v13, v43, v44
	v_add_f16_e32 v15, v16, v27
	v_add_f16_e32 v29, v23, v16
	v_fmac_f16_e32 v25, -0.5, v2
	v_add_f16_e32 v2, v14, v28
	v_add_f16_e32 v30, v12, v30
	v_fmac_f16_e32 v23, -0.5, v15
	v_sub_f16_e32 v37, v10, v42
	v_fmamk_f16 v31, v13, 0x3aee, v25
	v_fmac_f16_e32 v25, 0xbaee, v13
	v_add_f16_e32 v38, v22, v14
	v_fmac_f16_e32 v22, -0.5, v2
	s_waitcnt lgkmcnt(0)
	s_barrier
	buffer_gl0_inv
	ds_read_u16 v15, v0 offset:192
	ds_read_u16 v18, v8 offset:96
	;; [unrolled: 1-line block ×6, first 2 shown]
	ds_read_u16 v2, v8
	ds_read_u16 v16, v0 offset:288
	ds_read_u16 v19, v8 offset:768
	;; [unrolled: 1-line block ×4, first 2 shown]
	v_sub_f16_e32 v39, v40, v41
	v_add_f16_e32 v27, v29, v27
	v_fmamk_f16 v29, v37, 0x3aee, v23
	v_fmac_f16_e32 v23, 0xbaee, v37
	v_add_f16_e32 v28, v38, v28
	v_fmamk_f16 v37, v39, 0x3aee, v22
	v_fmac_f16_e32 v22, 0xbaee, v39
	s_waitcnt lgkmcnt(0)
	s_barrier
	buffer_gl0_inv
	ds_write_b16 v36, v30
	ds_write_b16 v36, v31 offset:32
	ds_write_b16 v36, v25 offset:64
	ds_write_b16 v35, v27
	ds_write_b16 v35, v29 offset:32
	ds_write_b16 v35, v23 offset:64
	;; [unrolled: 3-line block ×3, first 2 shown]
	s_and_saveexec_b32 s0, s1
	s_cbranch_execz .LBB0_35
; %bb.34:
	v_mul_u32_u24_e32 v11, 48, v11
	v_add_f16_e32 v22, v26, v17
	v_add_f16_e32 v23, v1, v26
	v_sub_f16_e32 v25, v32, v33
	v_or_b32_e32 v11, v11, v24
	v_fmac_f16_e32 v1, -0.5, v22
	v_add_f16_e32 v17, v23, v17
	v_lshl_add_u32 v11, v11, 1, 0
	v_fmamk_f16 v22, v25, 0x3aee, v1
	v_fmamk_f16 v1, v25, 0xbaee, v1
	ds_write_b16 v11, v17
	ds_write_b16 v11, v22 offset:32
	ds_write_b16 v11, v1 offset:64
.LBB0_35:
	s_or_b32 exec_lo, exec_lo, s0
	s_waitcnt lgkmcnt(0)
	s_barrier
	buffer_gl0_inv
	s_and_saveexec_b32 s0, vcc_lo
	s_cbranch_execz .LBB0_37
; %bb.36:
	v_mul_u32_u24_e32 v1, 10, v9
	v_mul_lo_u32 v9, s2, v7
	v_lshlrev_b64 v[3:4], 2, v[3:4]
	v_lshlrev_b32_e32 v1, 2, v1
	s_clause 0x2
	global_load_dwordx4 v[22:25], v1, s[12:13] offset:176
	global_load_dwordx2 v[30:31], v1, s[12:13] offset:208
	global_load_dwordx4 v[26:29], v1, s[12:13] offset:192
	v_mul_lo_u32 v1, s3, v6
	v_mad_u64_u32 v[6:7], null, s2, v6, 0
	ds_read_u16 v34, v8 offset:960
	ds_read_u16 v35, v8 offset:480
	;; [unrolled: 1-line block ×6, first 2 shown]
	v_add3_u32 v7, v7, v9, v1
	v_lshlrev_b64 v[32:33], 2, v[6:7]
	ds_read_u16 v40, v8 offset:384
	ds_read_u16 v7, v8 offset:96
	ds_read_u16 v41, v8
	v_mov_b32_e32 v6, 0
	v_add_co_u32 v1, vcc_lo, s10, v32
	v_add_co_ci_u32_e32 v8, vcc_lo, s11, v33, vcc_lo
	v_lshlrev_b64 v[5:6], 2, v[5:6]
	v_add_co_u32 v1, vcc_lo, v1, v3
	v_add_co_ci_u32_e32 v3, vcc_lo, v8, v4, vcc_lo
	ds_read_u16 v8, v0 offset:192
	ds_read_u16 v32, v0 offset:288
	v_add_co_u32 v0, vcc_lo, v1, v5
	v_add_co_ci_u32_e32 v1, vcc_lo, v3, v6, vcc_lo
	s_waitcnt vmcnt(2)
	v_lshrrev_b32_e32 v5, 16, v22
	v_lshrrev_b32_e32 v42, 16, v24
	v_mul_f16_e32 v44, v18, v22
	v_lshrrev_b32_e32 v33, 16, v23
	v_lshrrev_b32_e32 v43, 16, v25
	s_waitcnt vmcnt(1)
	v_lshrrev_b32_e32 v45, 16, v30
	v_lshrrev_b32_e32 v46, 16, v31
	v_mul_f16_e32 v3, v21, v31
	v_mul_f16_e32 v47, v15, v23
	;; [unrolled: 1-line block ×4, first 2 shown]
	s_waitcnt vmcnt(0)
	v_lshrrev_b32_e32 v49, 16, v26
	v_lshrrev_b32_e32 v50, 16, v27
	;; [unrolled: 1-line block ×4, first 2 shown]
	v_mul_f16_e32 v6, v19, v29
	v_mul_f16_e32 v53, v13, v25
	;; [unrolled: 1-line block ×5, first 2 shown]
	s_waitcnt lgkmcnt(3)
	v_fmac_f16_e32 v44, v7, v5
	v_mul_f16_e32 v18, v18, v5
	v_mul_f16_e32 v16, v16, v42
	v_fmac_f16_e32 v3, v34, v46
	v_mul_f16_e32 v21, v21, v46
	s_waitcnt lgkmcnt(1)
	v_fmac_f16_e32 v47, v8, v33
	v_fmac_f16_e32 v4, v36, v45
	v_mul_f16_e32 v20, v20, v45
	v_mul_f16_e32 v15, v15, v33
	s_waitcnt lgkmcnt(0)
	v_fmac_f16_e32 v48, v32, v42
	v_fmac_f16_e32 v6, v37, v52
	v_mul_f16_e32 v19, v19, v52
	v_fmac_f16_e32 v53, v40, v43
	v_fmac_f16_e32 v9, v38, v51
	v_mul_f16_e32 v14, v14, v51
	v_mul_f16_e32 v13, v13, v43
	v_fmac_f16_e32 v17, v35, v49
	v_fmac_f16_e32 v11, v39, v50
	v_mul_f16_e32 v12, v12, v50
	v_mul_f16_e32 v33, v10, v49
	v_fma_f16 v18, v7, v22, -v18
	v_fma_f16 v16, v32, v24, -v16
	v_add_f16_e32 v24, v2, v44
	v_sub_f16_e32 v42, v44, v3
	v_fma_f16 v5, v34, v31, -v21
	v_sub_f16_e32 v21, v47, v4
	v_fma_f16 v7, v36, v30, -v20
	v_fma_f16 v15, v8, v23, -v15
	v_sub_f16_e32 v20, v48, v6
	v_fma_f16 v8, v37, v29, -v19
	v_sub_f16_e32 v19, v53, v9
	v_fma_f16 v10, v38, v28, -v14
	v_fma_f16 v14, v40, v25, -v13
	;; [unrolled: 1-line block ×4, first 2 shown]
	v_sub_f16_e32 v22, v17, v11
	v_add_f16_e32 v59, v18, v41
	v_add_f16_e32 v24, v24, v47
	;; [unrolled: 1-line block ×3, first 2 shown]
	v_mul_f16_e32 v29, 0xb853, v42
	v_add_f16_e32 v30, v18, v5
	v_mul_f16_e32 v31, 0xbb47, v21
	v_add_f16_e32 v32, v15, v7
	;; [unrolled: 2-line block ×4, first 2 shown]
	v_mul_f16_e32 v37, 0xbb47, v42
	v_mul_f16_e32 v38, 0xba0c, v21
	;; [unrolled: 1-line block ×21, first 2 shown]
	v_add_f16_e32 v58, v13, v12
	v_sub_f16_e32 v18, v18, v5
	v_sub_f16_e32 v60, v15, v7
	v_add_f16_e32 v15, v59, v15
	v_add_f16_e32 v24, v24, v48
	;; [unrolled: 1-line block ×3, first 2 shown]
	v_sub_f16_e32 v47, v16, v8
	v_sub_f16_e32 v61, v14, v10
	;; [unrolled: 1-line block ×3, first 2 shown]
	v_fmamk_f16 v63, v30, 0x3abb, v29
	v_fmamk_f16 v64, v32, 0x36a6, v31
	;; [unrolled: 1-line block ×13, first 2 shown]
	v_fma_f16 v42, v30, 0xbbad, -v42
	v_fma_f16 v45, v30, 0xb93d, -v45
	v_fma_f16 v40, v30, 0xb08e, -v40
	v_fma_f16 v37, v30, 0x36a6, -v37
	v_fma_f16 v29, v30, 0x3abb, -v29
	v_fmamk_f16 v30, v32, 0x3abb, v21
	v_fma_f16 v21, v32, 0x3abb, -v21
	v_fma_f16 v46, v32, 0xb08e, -v46
	v_fma_f16 v43, v32, 0xbbad, -v43
	v_fma_f16 v38, v32, 0xb93d, -v38
	v_fma_f16 v31, v32, 0x36a6, -v31
	v_fmamk_f16 v32, v34, 0xb93d, v20
	;; [unrolled: 6-line block ×3, first 2 shown]
	v_fma_f16 v51, v36, 0x36a6, -v51
	v_fmamk_f16 v76, v36, 0xbbad, v50
	v_fma_f16 v50, v36, 0xbbad, -v50
	v_fmamk_f16 v77, v36, 0x3abb, v19
	;; [unrolled: 2-line block ×9, first 2 shown]
	v_fma_f16 v54, v58, 0xbbad, -v54
	v_mul_f16_e32 v58, 0xb853, v18
	v_mul_f16_e32 v84, 0xbb47, v18
	;; [unrolled: 1-line block ×5, first 2 shown]
	v_add_f16_e32 v24, v24, v53
	v_add_f16_e32 v15, v15, v16
	;; [unrolled: 1-line block ×5, first 2 shown]
	v_mul_f16_e32 v59, 0x3853, v60
	v_mul_f16_e32 v87, 0xbb47, v60
	;; [unrolled: 1-line block ×20, first 2 shown]
	v_add_f16_e32 v63, v41, v63
	v_add_f16_e32 v66, v41, v66
	;; [unrolled: 1-line block ×10, first 2 shown]
	v_fma_f16 v41, v23, 0xbbad, -v18
	v_fmac_f16_e32 v18, 0xbbad, v23
	v_fma_f16 v101, v23, 0xb93d, -v86
	v_fmac_f16_e32 v86, 0xb93d, v23
	;; [unrolled: 2-line block ×5, first 2 shown]
	v_add_f16_e32 v17, v24, v17
	v_add_f16_e32 v14, v15, v14
	v_fma_f16 v23, v25, 0x3abb, -v59
	v_fmac_f16_e32 v59, 0x3abb, v25
	v_fma_f16 v105, v25, 0xb08e, -v88
	v_fmac_f16_e32 v88, 0xb08e, v25
	;; [unrolled: 2-line block ×20, first 2 shown]
	v_add_f16_e32 v16, v63, v64
	v_add_f16_e32 v28, v66, v67
	;; [unrolled: 1-line block ×100, first 2 shown]
	v_pack_b32_f16 v2, v2, v29
	v_add_f16_e32 v4, v5, v4
	v_pack_b32_f16 v6, v8, v26
	v_pack_b32_f16 v17, v17, v30
	;; [unrolled: 1-line block ×8, first 2 shown]
	global_store_dword v[0:1], v2, off offset:192
	global_store_dword v[0:1], v6, off offset:384
	;; [unrolled: 1-line block ×5, first 2 shown]
	v_pack_b32_f16 v2, v3, v4
	v_pack_b32_f16 v10, v10, v12
	global_store_dword v[0:1], v17, off offset:1152
	global_store_dword v[0:1], v15, off offset:1344
	;; [unrolled: 1-line block ×4, first 2 shown]
	global_store_dword v[0:1], v2, off
	global_store_dword v[0:1], v10, off offset:1920
.LBB0_37:
	s_endpgm
	.section	.rodata,"a",@progbits
	.p2align	6, 0x0
	.amdhsa_kernel fft_rtc_back_len528_factors_4_4_3_11_wgs_48_tpt_48_halfLds_half_op_CI_CI_unitstride_sbrr_dirReg
		.amdhsa_group_segment_fixed_size 0
		.amdhsa_private_segment_fixed_size 0
		.amdhsa_kernarg_size 104
		.amdhsa_user_sgpr_count 6
		.amdhsa_user_sgpr_private_segment_buffer 1
		.amdhsa_user_sgpr_dispatch_ptr 0
		.amdhsa_user_sgpr_queue_ptr 0
		.amdhsa_user_sgpr_kernarg_segment_ptr 1
		.amdhsa_user_sgpr_dispatch_id 0
		.amdhsa_user_sgpr_flat_scratch_init 0
		.amdhsa_user_sgpr_private_segment_size 0
		.amdhsa_wavefront_size32 1
		.amdhsa_uses_dynamic_stack 0
		.amdhsa_system_sgpr_private_segment_wavefront_offset 0
		.amdhsa_system_sgpr_workgroup_id_x 1
		.amdhsa_system_sgpr_workgroup_id_y 0
		.amdhsa_system_sgpr_workgroup_id_z 0
		.amdhsa_system_sgpr_workgroup_info 0
		.amdhsa_system_vgpr_workitem_id 0
		.amdhsa_next_free_vgpr 121
		.amdhsa_next_free_sgpr 27
		.amdhsa_reserve_vcc 1
		.amdhsa_reserve_flat_scratch 0
		.amdhsa_float_round_mode_32 0
		.amdhsa_float_round_mode_16_64 0
		.amdhsa_float_denorm_mode_32 3
		.amdhsa_float_denorm_mode_16_64 3
		.amdhsa_dx10_clamp 1
		.amdhsa_ieee_mode 1
		.amdhsa_fp16_overflow 0
		.amdhsa_workgroup_processor_mode 1
		.amdhsa_memory_ordered 1
		.amdhsa_forward_progress 0
		.amdhsa_shared_vgpr_count 0
		.amdhsa_exception_fp_ieee_invalid_op 0
		.amdhsa_exception_fp_denorm_src 0
		.amdhsa_exception_fp_ieee_div_zero 0
		.amdhsa_exception_fp_ieee_overflow 0
		.amdhsa_exception_fp_ieee_underflow 0
		.amdhsa_exception_fp_ieee_inexact 0
		.amdhsa_exception_int_div_zero 0
	.end_amdhsa_kernel
	.text
.Lfunc_end0:
	.size	fft_rtc_back_len528_factors_4_4_3_11_wgs_48_tpt_48_halfLds_half_op_CI_CI_unitstride_sbrr_dirReg, .Lfunc_end0-fft_rtc_back_len528_factors_4_4_3_11_wgs_48_tpt_48_halfLds_half_op_CI_CI_unitstride_sbrr_dirReg
                                        ; -- End function
	.section	.AMDGPU.csdata,"",@progbits
; Kernel info:
; codeLenInByte = 7168
; NumSgprs: 29
; NumVgprs: 121
; ScratchSize: 0
; MemoryBound: 0
; FloatMode: 240
; IeeeMode: 1
; LDSByteSize: 0 bytes/workgroup (compile time only)
; SGPRBlocks: 3
; VGPRBlocks: 15
; NumSGPRsForWavesPerEU: 29
; NumVGPRsForWavesPerEU: 121
; Occupancy: 8
; WaveLimiterHint : 1
; COMPUTE_PGM_RSRC2:SCRATCH_EN: 0
; COMPUTE_PGM_RSRC2:USER_SGPR: 6
; COMPUTE_PGM_RSRC2:TRAP_HANDLER: 0
; COMPUTE_PGM_RSRC2:TGID_X_EN: 1
; COMPUTE_PGM_RSRC2:TGID_Y_EN: 0
; COMPUTE_PGM_RSRC2:TGID_Z_EN: 0
; COMPUTE_PGM_RSRC2:TIDIG_COMP_CNT: 0
	.text
	.p2alignl 6, 3214868480
	.fill 48, 4, 3214868480
	.type	__hip_cuid_2294b756252e3cc5,@object ; @__hip_cuid_2294b756252e3cc5
	.section	.bss,"aw",@nobits
	.globl	__hip_cuid_2294b756252e3cc5
__hip_cuid_2294b756252e3cc5:
	.byte	0                               ; 0x0
	.size	__hip_cuid_2294b756252e3cc5, 1

	.ident	"AMD clang version 19.0.0git (https://github.com/RadeonOpenCompute/llvm-project roc-6.4.0 25133 c7fe45cf4b819c5991fe208aaa96edf142730f1d)"
	.section	".note.GNU-stack","",@progbits
	.addrsig
	.addrsig_sym __hip_cuid_2294b756252e3cc5
	.amdgpu_metadata
---
amdhsa.kernels:
  - .args:
      - .actual_access:  read_only
        .address_space:  global
        .offset:         0
        .size:           8
        .value_kind:     global_buffer
      - .offset:         8
        .size:           8
        .value_kind:     by_value
      - .actual_access:  read_only
        .address_space:  global
        .offset:         16
        .size:           8
        .value_kind:     global_buffer
      - .actual_access:  read_only
        .address_space:  global
        .offset:         24
        .size:           8
        .value_kind:     global_buffer
      - .actual_access:  read_only
        .address_space:  global
        .offset:         32
        .size:           8
        .value_kind:     global_buffer
      - .offset:         40
        .size:           8
        .value_kind:     by_value
      - .actual_access:  read_only
        .address_space:  global
        .offset:         48
        .size:           8
        .value_kind:     global_buffer
      - .actual_access:  read_only
        .address_space:  global
        .offset:         56
        .size:           8
        .value_kind:     global_buffer
      - .offset:         64
        .size:           4
        .value_kind:     by_value
      - .actual_access:  read_only
        .address_space:  global
        .offset:         72
        .size:           8
        .value_kind:     global_buffer
      - .actual_access:  read_only
        .address_space:  global
        .offset:         80
        .size:           8
        .value_kind:     global_buffer
      - .actual_access:  read_only
        .address_space:  global
        .offset:         88
        .size:           8
        .value_kind:     global_buffer
      - .actual_access:  write_only
        .address_space:  global
        .offset:         96
        .size:           8
        .value_kind:     global_buffer
    .group_segment_fixed_size: 0
    .kernarg_segment_align: 8
    .kernarg_segment_size: 104
    .language:       OpenCL C
    .language_version:
      - 2
      - 0
    .max_flat_workgroup_size: 48
    .name:           fft_rtc_back_len528_factors_4_4_3_11_wgs_48_tpt_48_halfLds_half_op_CI_CI_unitstride_sbrr_dirReg
    .private_segment_fixed_size: 0
    .sgpr_count:     29
    .sgpr_spill_count: 0
    .symbol:         fft_rtc_back_len528_factors_4_4_3_11_wgs_48_tpt_48_halfLds_half_op_CI_CI_unitstride_sbrr_dirReg.kd
    .uniform_work_group_size: 1
    .uses_dynamic_stack: false
    .vgpr_count:     121
    .vgpr_spill_count: 0
    .wavefront_size: 32
    .workgroup_processor_mode: 1
amdhsa.target:   amdgcn-amd-amdhsa--gfx1030
amdhsa.version:
  - 1
  - 2
...

	.end_amdgpu_metadata
